;; amdgpu-corpus repo=ROCm/rocFFT kind=compiled arch=gfx1201 opt=O3
	.text
	.amdgcn_target "amdgcn-amd-amdhsa--gfx1201"
	.amdhsa_code_object_version 6
	.protected	fft_rtc_fwd_len1470_factors_2_3_5_7_7_wgs_210_tpt_210_halfLds_dp_ip_CI_unitstride_sbrr_dirReg ; -- Begin function fft_rtc_fwd_len1470_factors_2_3_5_7_7_wgs_210_tpt_210_halfLds_dp_ip_CI_unitstride_sbrr_dirReg
	.globl	fft_rtc_fwd_len1470_factors_2_3_5_7_7_wgs_210_tpt_210_halfLds_dp_ip_CI_unitstride_sbrr_dirReg
	.p2align	8
	.type	fft_rtc_fwd_len1470_factors_2_3_5_7_7_wgs_210_tpt_210_halfLds_dp_ip_CI_unitstride_sbrr_dirReg,@function
fft_rtc_fwd_len1470_factors_2_3_5_7_7_wgs_210_tpt_210_halfLds_dp_ip_CI_unitstride_sbrr_dirReg: ; @fft_rtc_fwd_len1470_factors_2_3_5_7_7_wgs_210_tpt_210_halfLds_dp_ip_CI_unitstride_sbrr_dirReg
; %bb.0:
	s_clause 0x2
	s_load_b128 s[4:7], s[0:1], 0x0
	s_load_b64 s[8:9], s[0:1], 0x50
	s_load_b64 s[10:11], s[0:1], 0x18
	v_mul_u32_u24_e32 v1, 0x139, v0
	v_mov_b32_e32 v3, 0
	s_delay_alu instid0(VALU_DEP_2) | instskip(NEXT) | instid1(VALU_DEP_1)
	v_lshrrev_b32_e32 v1, 16, v1
	v_add_nc_u32_e32 v5, ttmp9, v1
	v_mov_b32_e32 v1, 0
	v_mov_b32_e32 v2, 0
	;; [unrolled: 1-line block ×3, first 2 shown]
	s_wait_kmcnt 0x0
	v_cmp_lt_u64_e64 s2, s[6:7], 2
	s_delay_alu instid0(VALU_DEP_1)
	s_and_b32 vcc_lo, exec_lo, s2
	s_cbranch_vccnz .LBB0_8
; %bb.1:
	s_load_b64 s[2:3], s[0:1], 0x10
	v_mov_b32_e32 v1, 0
	v_mov_b32_e32 v2, 0
	s_add_nc_u64 s[12:13], s[10:11], 8
	s_mov_b64 s[14:15], 1
	s_wait_kmcnt 0x0
	s_add_nc_u64 s[16:17], s[2:3], 8
	s_mov_b32 s3, 0
.LBB0_2:                                ; =>This Inner Loop Header: Depth=1
	s_load_b64 s[18:19], s[16:17], 0x0
                                        ; implicit-def: $vgpr7_vgpr8
	s_mov_b32 s2, exec_lo
	s_wait_kmcnt 0x0
	v_or_b32_e32 v4, s19, v6
	s_delay_alu instid0(VALU_DEP_1)
	v_cmpx_ne_u64_e32 0, v[3:4]
	s_wait_alu 0xfffe
	s_xor_b32 s20, exec_lo, s2
	s_cbranch_execz .LBB0_4
; %bb.3:                                ;   in Loop: Header=BB0_2 Depth=1
	s_cvt_f32_u32 s2, s18
	s_cvt_f32_u32 s21, s19
	s_sub_nc_u64 s[24:25], 0, s[18:19]
	s_wait_alu 0xfffe
	s_delay_alu instid0(SALU_CYCLE_1) | instskip(SKIP_1) | instid1(SALU_CYCLE_2)
	s_fmamk_f32 s2, s21, 0x4f800000, s2
	s_wait_alu 0xfffe
	v_s_rcp_f32 s2, s2
	s_delay_alu instid0(TRANS32_DEP_1) | instskip(SKIP_1) | instid1(SALU_CYCLE_2)
	s_mul_f32 s2, s2, 0x5f7ffffc
	s_wait_alu 0xfffe
	s_mul_f32 s21, s2, 0x2f800000
	s_wait_alu 0xfffe
	s_delay_alu instid0(SALU_CYCLE_2) | instskip(SKIP_1) | instid1(SALU_CYCLE_2)
	s_trunc_f32 s21, s21
	s_wait_alu 0xfffe
	s_fmamk_f32 s2, s21, 0xcf800000, s2
	s_cvt_u32_f32 s23, s21
	s_wait_alu 0xfffe
	s_delay_alu instid0(SALU_CYCLE_1) | instskip(SKIP_1) | instid1(SALU_CYCLE_2)
	s_cvt_u32_f32 s22, s2
	s_wait_alu 0xfffe
	s_mul_u64 s[26:27], s[24:25], s[22:23]
	s_wait_alu 0xfffe
	s_mul_hi_u32 s29, s22, s27
	s_mul_i32 s28, s22, s27
	s_mul_hi_u32 s2, s22, s26
	s_mul_i32 s30, s23, s26
	s_wait_alu 0xfffe
	s_add_nc_u64 s[28:29], s[2:3], s[28:29]
	s_mul_hi_u32 s21, s23, s26
	s_mul_hi_u32 s31, s23, s27
	s_add_co_u32 s2, s28, s30
	s_wait_alu 0xfffe
	s_add_co_ci_u32 s2, s29, s21
	s_mul_i32 s26, s23, s27
	s_add_co_ci_u32 s27, s31, 0
	s_wait_alu 0xfffe
	s_add_nc_u64 s[26:27], s[2:3], s[26:27]
	s_wait_alu 0xfffe
	v_add_co_u32 v4, s2, s22, s26
	s_delay_alu instid0(VALU_DEP_1) | instskip(SKIP_1) | instid1(VALU_DEP_1)
	s_cmp_lg_u32 s2, 0
	s_add_co_ci_u32 s23, s23, s27
	v_readfirstlane_b32 s22, v4
	s_wait_alu 0xfffe
	s_delay_alu instid0(VALU_DEP_1)
	s_mul_u64 s[24:25], s[24:25], s[22:23]
	s_wait_alu 0xfffe
	s_mul_hi_u32 s27, s22, s25
	s_mul_i32 s26, s22, s25
	s_mul_hi_u32 s2, s22, s24
	s_mul_i32 s28, s23, s24
	s_wait_alu 0xfffe
	s_add_nc_u64 s[26:27], s[2:3], s[26:27]
	s_mul_hi_u32 s21, s23, s24
	s_mul_hi_u32 s22, s23, s25
	s_wait_alu 0xfffe
	s_add_co_u32 s2, s26, s28
	s_add_co_ci_u32 s2, s27, s21
	s_mul_i32 s24, s23, s25
	s_add_co_ci_u32 s25, s22, 0
	s_wait_alu 0xfffe
	s_add_nc_u64 s[24:25], s[2:3], s[24:25]
	s_wait_alu 0xfffe
	v_add_co_u32 v4, s2, v4, s24
	s_delay_alu instid0(VALU_DEP_1) | instskip(SKIP_1) | instid1(VALU_DEP_1)
	s_cmp_lg_u32 s2, 0
	s_add_co_ci_u32 s2, s23, s25
	v_mul_hi_u32 v13, v5, v4
	s_wait_alu 0xfffe
	v_mad_co_u64_u32 v[7:8], null, v5, s2, 0
	v_mad_co_u64_u32 v[9:10], null, v6, v4, 0
	;; [unrolled: 1-line block ×3, first 2 shown]
	s_delay_alu instid0(VALU_DEP_3) | instskip(SKIP_1) | instid1(VALU_DEP_4)
	v_add_co_u32 v4, vcc_lo, v13, v7
	s_wait_alu 0xfffd
	v_add_co_ci_u32_e32 v7, vcc_lo, 0, v8, vcc_lo
	s_delay_alu instid0(VALU_DEP_2) | instskip(SKIP_1) | instid1(VALU_DEP_2)
	v_add_co_u32 v4, vcc_lo, v4, v9
	s_wait_alu 0xfffd
	v_add_co_ci_u32_e32 v4, vcc_lo, v7, v10, vcc_lo
	s_wait_alu 0xfffd
	v_add_co_ci_u32_e32 v7, vcc_lo, 0, v12, vcc_lo
	s_delay_alu instid0(VALU_DEP_2) | instskip(SKIP_1) | instid1(VALU_DEP_2)
	v_add_co_u32 v4, vcc_lo, v4, v11
	s_wait_alu 0xfffd
	v_add_co_ci_u32_e32 v9, vcc_lo, 0, v7, vcc_lo
	s_delay_alu instid0(VALU_DEP_2) | instskip(SKIP_1) | instid1(VALU_DEP_3)
	v_mul_lo_u32 v10, s19, v4
	v_mad_co_u64_u32 v[7:8], null, s18, v4, 0
	v_mul_lo_u32 v11, s18, v9
	s_delay_alu instid0(VALU_DEP_2) | instskip(NEXT) | instid1(VALU_DEP_2)
	v_sub_co_u32 v7, vcc_lo, v5, v7
	v_add3_u32 v8, v8, v11, v10
	s_delay_alu instid0(VALU_DEP_1) | instskip(SKIP_1) | instid1(VALU_DEP_1)
	v_sub_nc_u32_e32 v10, v6, v8
	s_wait_alu 0xfffd
	v_subrev_co_ci_u32_e64 v10, s2, s19, v10, vcc_lo
	v_add_co_u32 v11, s2, v4, 2
	s_wait_alu 0xf1ff
	v_add_co_ci_u32_e64 v12, s2, 0, v9, s2
	v_sub_co_u32 v13, s2, v7, s18
	v_sub_co_ci_u32_e32 v8, vcc_lo, v6, v8, vcc_lo
	s_wait_alu 0xf1ff
	v_subrev_co_ci_u32_e64 v10, s2, 0, v10, s2
	s_delay_alu instid0(VALU_DEP_3) | instskip(NEXT) | instid1(VALU_DEP_3)
	v_cmp_le_u32_e32 vcc_lo, s18, v13
	v_cmp_eq_u32_e64 s2, s19, v8
	s_wait_alu 0xfffd
	v_cndmask_b32_e64 v13, 0, -1, vcc_lo
	v_cmp_le_u32_e32 vcc_lo, s19, v10
	s_wait_alu 0xfffd
	v_cndmask_b32_e64 v14, 0, -1, vcc_lo
	v_cmp_le_u32_e32 vcc_lo, s18, v7
	;; [unrolled: 3-line block ×3, first 2 shown]
	s_wait_alu 0xfffd
	v_cndmask_b32_e64 v15, 0, -1, vcc_lo
	v_cmp_eq_u32_e32 vcc_lo, s19, v10
	s_wait_alu 0xf1ff
	s_delay_alu instid0(VALU_DEP_2)
	v_cndmask_b32_e64 v7, v15, v7, s2
	s_wait_alu 0xfffd
	v_cndmask_b32_e32 v10, v14, v13, vcc_lo
	v_add_co_u32 v13, vcc_lo, v4, 1
	s_wait_alu 0xfffd
	v_add_co_ci_u32_e32 v14, vcc_lo, 0, v9, vcc_lo
	s_delay_alu instid0(VALU_DEP_3) | instskip(SKIP_2) | instid1(VALU_DEP_3)
	v_cmp_ne_u32_e32 vcc_lo, 0, v10
	s_wait_alu 0xfffd
	v_cndmask_b32_e32 v10, v13, v11, vcc_lo
	v_cndmask_b32_e32 v8, v14, v12, vcc_lo
	v_cmp_ne_u32_e32 vcc_lo, 0, v7
	s_wait_alu 0xfffd
	s_delay_alu instid0(VALU_DEP_2)
	v_dual_cndmask_b32 v7, v4, v10 :: v_dual_cndmask_b32 v8, v9, v8
.LBB0_4:                                ;   in Loop: Header=BB0_2 Depth=1
	s_wait_alu 0xfffe
	s_and_not1_saveexec_b32 s2, s20
	s_cbranch_execz .LBB0_6
; %bb.5:                                ;   in Loop: Header=BB0_2 Depth=1
	v_cvt_f32_u32_e32 v4, s18
	s_sub_co_i32 s20, 0, s18
	s_delay_alu instid0(VALU_DEP_1) | instskip(NEXT) | instid1(TRANS32_DEP_1)
	v_rcp_iflag_f32_e32 v4, v4
	v_mul_f32_e32 v4, 0x4f7ffffe, v4
	s_delay_alu instid0(VALU_DEP_1) | instskip(SKIP_1) | instid1(VALU_DEP_1)
	v_cvt_u32_f32_e32 v4, v4
	s_wait_alu 0xfffe
	v_mul_lo_u32 v7, s20, v4
	s_delay_alu instid0(VALU_DEP_1) | instskip(NEXT) | instid1(VALU_DEP_1)
	v_mul_hi_u32 v7, v4, v7
	v_add_nc_u32_e32 v4, v4, v7
	s_delay_alu instid0(VALU_DEP_1) | instskip(NEXT) | instid1(VALU_DEP_1)
	v_mul_hi_u32 v4, v5, v4
	v_mul_lo_u32 v7, v4, s18
	v_add_nc_u32_e32 v8, 1, v4
	s_delay_alu instid0(VALU_DEP_2) | instskip(NEXT) | instid1(VALU_DEP_1)
	v_sub_nc_u32_e32 v7, v5, v7
	v_subrev_nc_u32_e32 v9, s18, v7
	v_cmp_le_u32_e32 vcc_lo, s18, v7
	s_wait_alu 0xfffd
	s_delay_alu instid0(VALU_DEP_2) | instskip(NEXT) | instid1(VALU_DEP_1)
	v_dual_cndmask_b32 v7, v7, v9 :: v_dual_cndmask_b32 v4, v4, v8
	v_cmp_le_u32_e32 vcc_lo, s18, v7
	s_delay_alu instid0(VALU_DEP_2) | instskip(SKIP_1) | instid1(VALU_DEP_1)
	v_add_nc_u32_e32 v8, 1, v4
	s_wait_alu 0xfffd
	v_dual_cndmask_b32 v7, v4, v8 :: v_dual_mov_b32 v8, v3
.LBB0_6:                                ;   in Loop: Header=BB0_2 Depth=1
	s_wait_alu 0xfffe
	s_or_b32 exec_lo, exec_lo, s2
	s_load_b64 s[20:21], s[12:13], 0x0
	s_delay_alu instid0(VALU_DEP_1)
	v_mul_lo_u32 v4, v8, s18
	v_mul_lo_u32 v11, v7, s19
	v_mad_co_u64_u32 v[9:10], null, v7, s18, 0
	s_add_nc_u64 s[14:15], s[14:15], 1
	s_add_nc_u64 s[12:13], s[12:13], 8
	s_wait_alu 0xfffe
	v_cmp_ge_u64_e64 s2, s[14:15], s[6:7]
	s_add_nc_u64 s[16:17], s[16:17], 8
	s_delay_alu instid0(VALU_DEP_2) | instskip(NEXT) | instid1(VALU_DEP_3)
	v_add3_u32 v4, v10, v11, v4
	v_sub_co_u32 v5, vcc_lo, v5, v9
	s_wait_alu 0xfffd
	s_delay_alu instid0(VALU_DEP_2) | instskip(SKIP_3) | instid1(VALU_DEP_2)
	v_sub_co_ci_u32_e32 v4, vcc_lo, v6, v4, vcc_lo
	s_and_b32 vcc_lo, exec_lo, s2
	s_wait_kmcnt 0x0
	v_mul_lo_u32 v6, s21, v5
	v_mul_lo_u32 v4, s20, v4
	v_mad_co_u64_u32 v[1:2], null, s20, v5, v[1:2]
	s_delay_alu instid0(VALU_DEP_1)
	v_add3_u32 v2, v6, v2, v4
	s_wait_alu 0xfffe
	s_cbranch_vccnz .LBB0_9
; %bb.7:                                ;   in Loop: Header=BB0_2 Depth=1
	v_dual_mov_b32 v5, v7 :: v_dual_mov_b32 v6, v8
	s_branch .LBB0_2
.LBB0_8:
	v_dual_mov_b32 v8, v6 :: v_dual_mov_b32 v7, v5
.LBB0_9:
	s_lshl_b64 s[2:3], s[6:7], 3
	v_mul_hi_u32 v3, 0x1381382, v0
	s_wait_alu 0xfffe
	s_add_nc_u64 s[2:3], s[10:11], s[2:3]
	v_mov_b32_e32 v50, 0
	s_load_b64 s[2:3], s[2:3], 0x0
	s_load_b64 s[0:1], s[0:1], 0x20
                                        ; implicit-def: $vgpr34_vgpr35
                                        ; implicit-def: $vgpr22_vgpr23
                                        ; implicit-def: $vgpr18_vgpr19
                                        ; implicit-def: $vgpr30_vgpr31
                                        ; implicit-def: $vgpr14_vgpr15
                                        ; implicit-def: $vgpr26_vgpr27
                                        ; implicit-def: $vgpr10_vgpr11
	s_delay_alu instid0(VALU_DEP_2) | instskip(NEXT) | instid1(VALU_DEP_1)
	v_mul_u32_u24_e32 v3, 0xd2, v3
	v_sub_nc_u32_e32 v51, v0, v3
	s_wait_kmcnt 0x0
	v_mul_lo_u32 v4, s2, v8
	v_mul_lo_u32 v5, s3, v7
	v_mad_co_u64_u32 v[1:2], null, s2, v7, v[1:2]
	v_cmp_gt_u64_e32 vcc_lo, s[0:1], v[7:8]
	s_delay_alu instid0(VALU_DEP_2) | instskip(NEXT) | instid1(VALU_DEP_1)
	v_add3_u32 v2, v5, v2, v4
	v_lshlrev_b64_e32 v[48:49], 4, v[1:2]
                                        ; implicit-def: $vgpr2_vgpr3
	s_and_saveexec_b32 s1, vcc_lo
	s_cbranch_execz .LBB0_13
; %bb.10:
	v_mov_b32_e32 v52, 0
	s_delay_alu instid0(VALU_DEP_2) | instskip(SKIP_2) | instid1(VALU_DEP_3)
	v_add_co_u32 v2, s0, s8, v48
	s_wait_alu 0xf1ff
	v_add_co_ci_u32_e64 v3, s0, s9, v49, s0
	v_lshlrev_b64_e32 v[0:1], 4, v[51:52]
	s_mov_b32 s2, exec_lo
                                        ; implicit-def: $vgpr20_vgpr21
                                        ; implicit-def: $vgpr32_vgpr33
	s_delay_alu instid0(VALU_DEP_1) | instskip(SKIP_1) | instid1(VALU_DEP_2)
	v_add_co_u32 v4, s0, v2, v0
	s_wait_alu 0xf1ff
	v_add_co_ci_u32_e64 v5, s0, v3, v1, s0
	s_clause 0x5
	global_load_b128 v[8:11], v[4:5], off
	global_load_b128 v[12:15], v[4:5], off offset:3360
	global_load_b128 v[24:27], v[4:5], off offset:11760
	;; [unrolled: 1-line block ×5, first 2 shown]
	v_cmpx_gt_u32_e32 0x69, v51
; %bb.11:
	s_clause 0x1
	global_load_b128 v[20:23], v[4:5], off offset:10080
	global_load_b128 v[32:35], v[4:5], off offset:21840
; %bb.12:
	s_wait_alu 0xfffe
	s_or_b32 exec_lo, exec_lo, s2
	v_mov_b32_e32 v50, v51
.LBB0_13:
	s_wait_alu 0xfffe
	s_or_b32 exec_lo, exec_lo, s1
	s_wait_loadcnt 0x3
	v_add_f64_e64 v[38:39], v[8:9], -v[24:25]
	s_wait_loadcnt 0x0
	v_add_f64_e64 v[6:7], v[20:21], -v[32:33]
	v_add_f64_e64 v[42:43], v[12:13], -v[28:29]
	;; [unrolled: 1-line block ×3, first 2 shown]
	v_add_nc_u32_e32 v59, 0xd2, v51
	v_add_nc_u32_e32 v28, 0x1a4, v51
	;; [unrolled: 1-line block ×3, first 2 shown]
	v_cmp_gt_u32_e64 s0, 0x69, v51
	v_fma_f64 v[36:37], v[8:9], 2.0, -v[38:39]
	v_fma_f64 v[4:5], v[20:21], 2.0, -v[6:7]
	;; [unrolled: 1-line block ×4, first 2 shown]
	v_lshl_add_u32 v13, v51, 4, 0
	v_lshl_add_u32 v12, v59, 4, 0
	;; [unrolled: 1-line block ×4, first 2 shown]
	ds_store_b128 v13, v[36:39]
	ds_store_b128 v12, v[40:43]
	;; [unrolled: 1-line block ×3, first 2 shown]
	s_and_saveexec_b32 s1, s0
	s_cbranch_execz .LBB0_15
; %bb.14:
	ds_store_b128 v8, v[4:7]
.LBB0_15:
	s_wait_alu 0xfffe
	s_or_b32 exec_lo, exec_lo, s1
	v_lshlrev_b32_e32 v0, 3, v51
	global_wb scope:SCOPE_SE
	s_wait_dscnt 0x0
	s_barrier_signal -1
	s_barrier_wait -1
	global_inv scope:SCOPE_SE
	v_sub_nc_u32_e32 v1, v13, v0
	v_sub_nc_u32_e32 v0, 0, v0
	v_cmp_gt_u32_e64 s1, 0x46, v51
                                        ; implicit-def: $vgpr20_vgpr21
	s_delay_alu instid0(VALU_DEP_3) | instskip(SKIP_1) | instid1(VALU_DEP_4)
	v_add_nc_u32_e32 v16, 0xe00, v1
	v_add_nc_u32_e32 v17, 0x1e00, v1
	;; [unrolled: 1-line block ×3, first 2 shown]
	ds_load_2addr_b64 v[36:39], v1 offset1:210
	ds_load_2addr_b64 v[40:43], v16 offset0:42 offset1:252
	ds_load_2addr_b64 v[44:47], v17 offset0:20 offset1:230
	s_and_saveexec_b32 s2, s1
	s_cbranch_execz .LBB0_17
; %bb.16:
	ds_load_b64 v[4:5], v58 offset:3360
	ds_load_b64 v[6:7], v58 offset:7280
	;; [unrolled: 1-line block ×3, first 2 shown]
.LBB0_17:
	s_wait_alu 0xfffe
	s_or_b32 exec_lo, exec_lo, s2
	v_add_f64_e64 v[26:27], v[10:11], -v[26:27]
	v_add_f64_e64 v[16:17], v[14:15], -v[30:31]
	;; [unrolled: 1-line block ×4, first 2 shown]
	global_wb scope:SCOPE_SE
	s_wait_dscnt 0x0
	s_barrier_signal -1
	s_barrier_wait -1
	global_inv scope:SCOPE_SE
	v_fma_f64 v[24:25], v[10:11], 2.0, -v[26:27]
	v_fma_f64 v[14:15], v[14:15], 2.0, -v[16:17]
	;; [unrolled: 1-line block ×4, first 2 shown]
	ds_store_b128 v13, v[24:27]
	ds_store_b128 v12, v[14:17]
	;; [unrolled: 1-line block ×3, first 2 shown]
	s_and_saveexec_b32 s2, s0
	s_cbranch_execz .LBB0_19
; %bb.18:
	ds_store_b128 v8, v[0:3]
.LBB0_19:
	s_wait_alu 0xfffe
	s_or_b32 exec_lo, exec_lo, s2
	v_add_nc_u32_e32 v12, 0xe00, v58
	v_add_nc_u32_e32 v16, 0x1e00, v58
	global_wb scope:SCOPE_SE
	s_wait_dscnt 0x0
	s_barrier_signal -1
	s_barrier_wait -1
	global_inv scope:SCOPE_SE
	ds_load_2addr_b64 v[8:11], v58 offset1:210
	ds_load_2addr_b64 v[12:15], v12 offset0:42 offset1:252
	ds_load_2addr_b64 v[16:19], v16 offset0:20 offset1:230
                                        ; implicit-def: $vgpr22_vgpr23
	s_and_saveexec_b32 s0, s1
	s_cbranch_execz .LBB0_21
; %bb.20:
	ds_load_b64 v[0:1], v58 offset:3360
	ds_load_b64 v[2:3], v58 offset:7280
	;; [unrolled: 1-line block ×3, first 2 shown]
.LBB0_21:
	s_wait_alu 0xfffe
	s_or_b32 exec_lo, exec_lo, s0
	v_and_b32_e32 v60, 1, v51
	s_mov_b32 s2, 0xe8584caa
	s_mov_b32 s3, 0x3febb67a
	;; [unrolled: 1-line block ×3, first 2 shown]
	s_wait_alu 0xfffe
	s_mov_b32 s6, s2
	v_lshlrev_b32_e32 v24, 5, v60
	s_clause 0x1
	global_load_b128 v[29:32], v24, s[4:5]
	global_load_b128 v[61:64], v24, s[4:5] offset:16
	global_wb scope:SCOPE_SE
	s_wait_loadcnt_dscnt 0x0
	s_barrier_signal -1
	s_barrier_wait -1
	global_inv scope:SCOPE_SE
	v_mul_f64_e32 v[24:25], v[12:13], v[31:32]
	v_mul_f64_e32 v[26:27], v[16:17], v[63:64]
	;; [unrolled: 1-line block ×12, first 2 shown]
	v_fma_f64 v[52:53], v[40:41], v[29:30], -v[24:25]
	v_fma_f64 v[44:45], v[44:45], v[61:62], -v[26:27]
	;; [unrolled: 1-line block ×6, first 2 shown]
	v_fma_f64 v[42:43], v[12:13], v[29:30], v[67:68]
	v_fma_f64 v[12:13], v[16:17], v[61:62], v[69:70]
	;; [unrolled: 1-line block ×6, first 2 shown]
	v_add_f64_e32 v[16:17], v[36:37], v[52:53]
	v_add_f64_e32 v[6:7], v[52:53], v[44:45]
	;; [unrolled: 1-line block ×6, first 2 shown]
	v_add_f64_e64 v[18:19], v[42:43], -v[12:13]
	v_add_f64_e64 v[29:30], v[46:47], -v[20:21]
	v_add_f64_e32 v[16:17], v[16:17], v[44:45]
	v_fma_f64 v[6:7], v[6:7], -0.5, v[36:37]
	v_add_f64_e64 v[36:37], v[54:55], -v[56:57]
	v_fma_f64 v[2:3], v[2:3], -0.5, v[38:39]
	v_add_f64_e32 v[22:23], v[22:23], v[40:41]
	v_fma_f64 v[38:39], v[14:15], -0.5, v[4:5]
	v_add_f64_e32 v[4:5], v[26:27], v[34:35]
	v_fma_f64 v[26:27], v[18:19], s[2:3], v[6:7]
	s_wait_alu 0xfffe
	v_fma_f64 v[18:19], v[18:19], s[6:7], v[6:7]
	v_fma_f64 v[61:62], v[29:30], s[2:3], v[2:3]
	;; [unrolled: 1-line block ×5, first 2 shown]
	v_lshrrev_b32_e32 v29, 1, v51
	v_lshrrev_b32_e32 v30, 1, v59
	;; [unrolled: 1-line block ×3, first 2 shown]
	s_delay_alu instid0(VALU_DEP_3) | instskip(NEXT) | instid1(VALU_DEP_3)
	v_mul_u32_u24_e32 v29, 6, v29
	v_mul_u32_u24_e32 v30, 6, v30
	s_delay_alu instid0(VALU_DEP_2) | instskip(NEXT) | instid1(VALU_DEP_2)
	v_or_b32_e32 v29, v29, v60
	v_or_b32_e32 v30, v30, v60
	s_delay_alu instid0(VALU_DEP_2) | instskip(NEXT) | instid1(VALU_DEP_2)
	v_lshl_add_u32 v37, v29, 3, 0
	v_lshl_add_u32 v38, v30, 3, 0
	ds_store_2addr_b64 v37, v[16:17], v[26:27] offset1:2
	ds_store_b64 v37, v[18:19] offset:32
	ds_store_2addr_b64 v38, v[22:23], v[61:62] offset1:2
	ds_store_b64 v38, v[2:3] offset:32
	s_and_saveexec_b32 s0, s1
	s_cbranch_execz .LBB0_23
; %bb.22:
	v_mul_u32_u24_e32 v16, 6, v36
	s_delay_alu instid0(VALU_DEP_1) | instskip(NEXT) | instid1(VALU_DEP_1)
	v_or_b32_e32 v16, v16, v60
	v_lshl_add_u32 v16, v16, 3, 0
	ds_store_2addr_b64 v16, v[4:5], v[14:15] offset1:2
	ds_store_b64 v16, v[6:7] offset:32
.LBB0_23:
	s_wait_alu 0xfffe
	s_or_b32 exec_lo, exec_lo, s0
	global_wb scope:SCOPE_SE
	s_wait_dscnt 0x0
	s_barrier_signal -1
	s_barrier_wait -1
	global_inv scope:SCOPE_SE
	ds_load_b64 v[18:19], v58
	ds_load_b64 v[22:23], v58 offset:2352
	ds_load_b64 v[26:27], v58 offset:4704
	;; [unrolled: 1-line block ×4, first 2 shown]
	v_cmp_gt_u32_e64 s0, 0x54, v51
                                        ; implicit-def: $vgpr16_vgpr17
	s_delay_alu instid0(VALU_DEP_1)
	s_and_saveexec_b32 s2, s0
	s_cbranch_execz .LBB0_25
; %bb.24:
	ds_load_b64 v[2:3], v58 offset:1680
	ds_load_b64 v[4:5], v58 offset:4032
	;; [unrolled: 1-line block ×5, first 2 shown]
.LBB0_25:
	s_wait_alu 0xfffe
	s_or_b32 exec_lo, exec_lo, s2
	v_add_f64_e32 v[61:62], v[42:43], v[12:13]
	v_add_f64_e32 v[63:64], v[46:47], v[20:21]
	;; [unrolled: 1-line block ×4, first 2 shown]
	v_add_f64_e64 v[44:45], v[52:53], -v[44:45]
	v_add_f64_e32 v[46:47], v[10:11], v[46:47]
	v_add_f64_e32 v[52:53], v[0:1], v[54:55]
	v_add_f64_e64 v[32:33], v[32:33], -v[40:41]
	v_add_f64_e64 v[24:25], v[24:25], -v[34:35]
	s_mov_b32 s2, 0xe8584caa
	s_mov_b32 s3, 0xbfebb67a
	;; [unrolled: 1-line block ×3, first 2 shown]
	s_wait_alu 0xfffe
	s_mov_b32 s6, s2
	global_wb scope:SCOPE_SE
	s_wait_dscnt 0x0
	s_barrier_signal -1
	s_barrier_wait -1
	global_inv scope:SCOPE_SE
	v_fma_f64 v[54:55], v[61:62], -0.5, v[8:9]
	v_fma_f64 v[10:11], v[63:64], -0.5, v[10:11]
	;; [unrolled: 1-line block ×3, first 2 shown]
	v_add_f64_e32 v[34:35], v[42:43], v[12:13]
	v_add_f64_e32 v[39:40], v[46:47], v[20:21]
	;; [unrolled: 1-line block ×3, first 2 shown]
	v_fma_f64 v[41:42], v[44:45], s[2:3], v[54:55]
	s_wait_alu 0xfffe
	v_fma_f64 v[43:44], v[44:45], s[6:7], v[54:55]
	v_fma_f64 v[45:46], v[32:33], s[2:3], v[10:11]
	;; [unrolled: 1-line block ×5, first 2 shown]
	ds_store_2addr_b64 v37, v[34:35], v[41:42] offset1:2
	ds_store_b64 v37, v[43:44] offset:32
	ds_store_2addr_b64 v38, v[39:40], v[45:46] offset1:2
	ds_store_b64 v38, v[12:13] offset:32
	s_and_saveexec_b32 s2, s1
	s_cbranch_execz .LBB0_27
; %bb.26:
	v_mul_u32_u24_e32 v0, 6, v36
	s_delay_alu instid0(VALU_DEP_1) | instskip(NEXT) | instid1(VALU_DEP_1)
	v_or_b32_e32 v0, v0, v60
	v_lshl_add_u32 v0, v0, 3, 0
	ds_store_2addr_b64 v0, v[8:9], v[20:21] offset1:2
	ds_store_b64 v0, v[10:11] offset:32
.LBB0_27:
	s_wait_alu 0xfffe
	s_or_b32 exec_lo, exec_lo, s2
	global_wb scope:SCOPE_SE
	s_wait_dscnt 0x0
	s_barrier_signal -1
	s_barrier_wait -1
	global_inv scope:SCOPE_SE
	ds_load_b64 v[0:1], v58
	ds_load_b64 v[42:43], v58 offset:2352
	ds_load_b64 v[44:45], v58 offset:4704
	;; [unrolled: 1-line block ×4, first 2 shown]
                                        ; implicit-def: $vgpr24_vgpr25
	s_and_saveexec_b32 s1, s0
	s_cbranch_execz .LBB0_29
; %bb.28:
	ds_load_b64 v[12:13], v58 offset:1680
	ds_load_b64 v[8:9], v58 offset:4032
	;; [unrolled: 1-line block ×5, first 2 shown]
.LBB0_29:
	s_wait_alu 0xfffe
	s_or_b32 exec_lo, exec_lo, s1
	v_and_b32_e32 v52, 0xff, v51
	s_mov_b32 s2, 0x134454ff
	s_mov_b32 s3, 0x3fee6f0e
	;; [unrolled: 1-line block ×3, first 2 shown]
	s_wait_alu 0xfffe
	s_mov_b32 s6, s2
	v_mul_lo_u16 v32, 0xab, v52
	s_mov_b32 s10, 0x4755a5e
	s_mov_b32 s11, 0x3fe2cf23
	;; [unrolled: 1-line block ×4, first 2 shown]
	v_lshrrev_b16 v94, 10, v32
	s_mov_b32 s14, 0x372fe950
	s_mov_b32 s15, 0x3fd3c6ef
	s_delay_alu instid0(VALU_DEP_1) | instskip(NEXT) | instid1(VALU_DEP_1)
	v_mul_lo_u16 v32, v94, 6
	v_sub_nc_u16 v32, v51, v32
	s_delay_alu instid0(VALU_DEP_1) | instskip(NEXT) | instid1(VALU_DEP_1)
	v_and_b32_e32 v95, 0xff, v32
	v_lshlrev_b32_e32 v32, 6, v95
	s_clause 0x3
	global_load_b128 v[53:56], v32, s[4:5] offset:64
	global_load_b128 v[60:63], v32, s[4:5] offset:80
	;; [unrolled: 1-line block ×4, first 2 shown]
	v_and_b32_e32 v32, 0xffff, v59
	s_delay_alu instid0(VALU_DEP_1) | instskip(NEXT) | instid1(VALU_DEP_1)
	v_mul_u32_u24_e32 v32, 0xaaab, v32
	v_lshrrev_b32_e32 v96, 18, v32
	s_delay_alu instid0(VALU_DEP_1) | instskip(NEXT) | instid1(VALU_DEP_1)
	v_mul_lo_u16 v32, v96, 6
	v_sub_nc_u16 v32, v59, v32
	s_delay_alu instid0(VALU_DEP_1) | instskip(NEXT) | instid1(VALU_DEP_1)
	v_and_b32_e32 v97, 0xffff, v32
	v_lshlrev_b32_e32 v32, 6, v97
	s_clause 0x3
	global_load_b128 v[72:75], v32, s[4:5] offset:64
	global_load_b128 v[76:79], v32, s[4:5] offset:80
	;; [unrolled: 1-line block ×4, first 2 shown]
	global_wb scope:SCOPE_SE
	s_wait_loadcnt_dscnt 0x0
	s_barrier_signal -1
	s_barrier_wait -1
	global_inv scope:SCOPE_SE
	v_mul_f64_e32 v[32:33], v[42:43], v[55:56]
	v_mul_f64_e32 v[34:35], v[44:45], v[62:63]
	;; [unrolled: 1-line block ×9, first 2 shown]
	v_fma_f64 v[34:35], v[26:27], v[60:61], -v[34:35]
	v_fma_f64 v[36:37], v[28:29], v[64:65], -v[36:37]
	;; [unrolled: 1-line block ×4, first 2 shown]
	v_fma_f64 v[30:31], v[42:43], v[53:54], v[55:56]
	v_fma_f64 v[22:23], v[46:47], v[68:69], v[70:71]
	;; [unrolled: 1-line block ×4, first 2 shown]
	v_mul_f64_e32 v[67:68], v[8:9], v[74:75]
	v_mul_f64_e32 v[69:70], v[4:5], v[74:75]
	;; [unrolled: 1-line block ×7, first 2 shown]
	v_add_f64_e32 v[40:41], v[34:35], v[36:37]
	v_add_f64_e32 v[44:45], v[18:19], v[32:33]
	v_add_f64_e32 v[42:43], v[32:33], v[38:39]
	v_add_f64_e64 v[55:56], v[38:39], -v[36:37]
	v_add_f64_e64 v[46:47], v[30:31], -v[22:23]
	;; [unrolled: 1-line block ×5, first 2 shown]
	v_fma_f64 v[40:41], v[40:41], -0.5, v[18:19]
	v_add_f64_e32 v[44:45], v[44:45], v[34:35]
	v_fma_f64 v[18:19], v[42:43], -0.5, v[18:19]
	v_add_f64_e64 v[42:43], v[32:33], -v[34:35]
	v_add_f64_e32 v[59:60], v[59:60], v[61:62]
	v_fma_f64 v[63:64], v[46:47], s[2:3], v[40:41]
	s_wait_alu 0xfffe
	v_fma_f64 v[40:41], v[46:47], s[6:7], v[40:41]
	v_fma_f64 v[65:66], v[53:54], s[6:7], v[18:19]
	;; [unrolled: 1-line block ×3, first 2 shown]
	v_add_f64_e32 v[55:56], v[42:43], v[55:56]
	v_add_f64_e32 v[61:62], v[44:45], v[36:37]
	v_fma_f64 v[42:43], v[4:5], v[72:73], -v[67:68]
	v_fma_f64 v[44:45], v[14:15], v[76:77], -v[74:75]
	v_fma_f64 v[14:15], v[10:11], v[80:81], v[82:83]
	v_fma_f64 v[63:64], v[53:54], s[10:11], v[63:64]
	v_fma_f64 v[53:54], v[53:54], s[12:13], v[40:41]
	v_fma_f64 v[65:66], v[46:47], s[10:11], v[65:66]
	v_fma_f64 v[92:93], v[46:47], s[12:13], v[18:19]
	v_fma_f64 v[40:41], v[8:9], v[72:73], v[69:70]
	v_fma_f64 v[18:19], v[20:21], v[76:77], v[78:79]
	v_fma_f64 v[20:21], v[6:7], v[80:81], -v[88:89]
	v_fma_f64 v[46:47], v[16:17], v[84:85], -v[90:91]
	v_add_f64_e32 v[4:5], v[61:62], v[38:39]
	v_fma_f64 v[16:17], v[24:25], v[84:85], v[86:87]
	v_and_b32_e32 v24, 0xffff, v94
	v_lshlrev_b32_e32 v25, 3, v95
	s_delay_alu instid0(VALU_DEP_2)
	v_mul_u32_u24_e32 v24, 0xf0, v24
	v_fma_f64 v[6:7], v[55:56], s[14:15], v[63:64]
	v_fma_f64 v[56:57], v[55:56], s[14:15], v[53:54]
	;; [unrolled: 1-line block ×4, first 2 shown]
	v_mul_lo_u16 v54, v96, 30
	v_lshlrev_b32_e32 v53, 3, v97
	v_add3_u32 v55, 0, v24, v25
	ds_store_2addr_b64 v55, v[4:5], v[6:7] offset1:6
	ds_store_2addr_b64 v55, v[8:9], v[10:11] offset0:12 offset1:18
	ds_store_b64 v55, v[56:57] offset:192
	s_and_saveexec_b32 s1, s0
	s_cbranch_execz .LBB0_31
; %bb.30:
	v_add_f64_e32 v[4:5], v[42:43], v[46:47]
	v_add_f64_e32 v[6:7], v[44:45], v[20:21]
	v_add_f64_e64 v[10:11], v[40:41], -v[16:17]
	v_add_f64_e32 v[24:25], v[2:3], v[42:43]
	v_add_f64_e64 v[8:9], v[18:19], -v[14:15]
	v_add_f64_e64 v[56:57], v[20:21], -v[46:47]
	;; [unrolled: 1-line block ×4, first 2 shown]
	v_fma_f64 v[4:5], v[4:5], -0.5, v[2:3]
	v_fma_f64 v[2:3], v[6:7], -0.5, v[2:3]
	v_add_f64_e64 v[6:7], v[44:45], -v[42:43]
	v_add_f64_e32 v[24:25], v[24:25], v[44:45]
	s_delay_alu instid0(VALU_DEP_4) | instskip(NEXT) | instid1(VALU_DEP_4)
	v_fma_f64 v[63:64], v[8:9], s[2:3], v[4:5]
	v_fma_f64 v[65:66], v[10:11], s[2:3], v[2:3]
	;; [unrolled: 1-line block ×4, first 2 shown]
	v_add_f64_e32 v[6:7], v[6:7], v[56:57]
	v_add_f64_e32 v[56:57], v[59:60], v[61:62]
	;; [unrolled: 1-line block ×3, first 2 shown]
	v_fma_f64 v[59:60], v[10:11], s[12:13], v[63:64]
	v_fma_f64 v[61:62], v[8:9], s[10:11], v[65:66]
	;; [unrolled: 1-line block ×4, first 2 shown]
	v_add_f64_e32 v[8:9], v[24:25], v[46:47]
	v_fma_f64 v[10:11], v[6:7], s[14:15], v[59:60]
	v_fma_f64 v[24:25], v[56:57], s[14:15], v[61:62]
	v_fma_f64 v[4:5], v[6:7], s[14:15], v[4:5]
	v_fma_f64 v[2:3], v[56:57], s[14:15], v[2:3]
	v_and_b32_e32 v6, 0xffff, v54
	s_delay_alu instid0(VALU_DEP_1) | instskip(NEXT) | instid1(VALU_DEP_1)
	v_lshlrev_b32_e32 v6, 3, v6
	v_add3_u32 v6, 0, v53, v6
	ds_store_2addr_b64 v6, v[8:9], v[24:25] offset1:6
	ds_store_2addr_b64 v6, v[4:5], v[10:11] offset0:12 offset1:18
	ds_store_b64 v6, v[2:3] offset:192
.LBB0_31:
	s_wait_alu 0xfffe
	s_or_b32 exec_lo, exec_lo, s1
	v_add_f64_e32 v[2:3], v[28:29], v[26:27]
	v_add_f64_e32 v[4:5], v[30:31], v[22:23]
	;; [unrolled: 1-line block ×3, first 2 shown]
	v_add_f64_e64 v[8:9], v[32:33], -v[38:39]
	v_add_f64_e64 v[10:11], v[34:35], -v[36:37]
	;; [unrolled: 1-line block ×4, first 2 shown]
	global_wb scope:SCOPE_SE
	s_wait_dscnt 0x0
	s_barrier_signal -1
	s_barrier_wait -1
	global_inv scope:SCOPE_SE
	v_fma_f64 v[2:3], v[2:3], -0.5, v[0:1]
	v_fma_f64 v[0:1], v[4:5], -0.5, v[0:1]
	v_add_f64_e64 v[4:5], v[30:31], -v[28:29]
	v_add_f64_e64 v[30:31], v[28:29], -v[30:31]
	v_add_f64_e32 v[6:7], v[6:7], v[28:29]
	v_fma_f64 v[28:29], v[8:9], s[6:7], v[2:3]
	v_fma_f64 v[34:35], v[10:11], s[2:3], v[0:1]
	;; [unrolled: 1-line block ×4, first 2 shown]
	v_add_f64_e32 v[4:5], v[4:5], v[24:25]
	v_add_f64_e32 v[6:7], v[6:7], v[26:27]
	;; [unrolled: 1-line block ×3, first 2 shown]
	v_fma_f64 v[26:27], v[10:11], s[12:13], v[28:29]
	v_fma_f64 v[28:29], v[8:9], s[12:13], v[34:35]
	;; [unrolled: 1-line block ×4, first 2 shown]
	v_add_f64_e32 v[30:31], v[6:7], v[22:23]
	v_fma_f64 v[32:33], v[4:5], s[14:15], v[26:27]
	v_fma_f64 v[27:28], v[24:25], s[14:15], v[28:29]
	;; [unrolled: 1-line block ×4, first 2 shown]
	v_lshl_add_u32 v24, v51, 3, 0
	v_add_nc_u32_e32 v25, 0x1a00, v58
	s_delay_alu instid0(VALU_DEP_2)
	v_add_nc_u32_e32 v26, 0xc00, v24
	ds_load_2addr_b64 v[0:3], v58 offset1:210
	ds_load_b64 v[22:23], v58 offset:10080
	ds_load_2addr_b64 v[4:7], v25 offset0:8 offset1:218
	ds_load_2addr_b64 v[8:11], v26 offset0:36 offset1:246
	global_wb scope:SCOPE_SE
	s_wait_dscnt 0x0
	s_barrier_signal -1
	s_barrier_wait -1
	global_inv scope:SCOPE_SE
	ds_store_2addr_b64 v55, v[30:31], v[32:33] offset1:6
	ds_store_2addr_b64 v55, v[27:28], v[34:35] offset0:12 offset1:18
	ds_store_b64 v55, v[36:37] offset:192
	s_and_saveexec_b32 s1, s0
	s_cbranch_execz .LBB0_33
; %bb.32:
	v_add_f64_e32 v[27:28], v[18:19], v[14:15]
	v_add_f64_e32 v[29:30], v[40:41], v[16:17]
	;; [unrolled: 1-line block ×3, first 2 shown]
	v_add_f64_e64 v[33:34], v[42:43], -v[46:47]
	v_add_f64_e64 v[20:21], v[44:45], -v[20:21]
	s_mov_b32 s2, 0x134454ff
	s_mov_b32 s3, 0xbfee6f0e
	;; [unrolled: 1-line block ×3, first 2 shown]
	s_wait_alu 0xfffe
	s_mov_b32 s6, s2
	v_add_f64_e64 v[35:36], v[16:17], -v[14:15]
	v_add_f64_e64 v[37:38], v[18:19], -v[40:41]
	v_fma_f64 v[27:28], v[27:28], -0.5, v[12:13]
	v_fma_f64 v[12:13], v[29:30], -0.5, v[12:13]
	v_add_f64_e64 v[29:30], v[40:41], -v[18:19]
	v_add_f64_e32 v[18:19], v[31:32], v[18:19]
	v_add_f64_e64 v[39:40], v[14:15], -v[16:17]
	v_fma_f64 v[31:32], v[33:34], s[2:3], v[27:28]
	s_wait_alu 0xfffe
	v_fma_f64 v[41:42], v[20:21], s[6:7], v[12:13]
	v_fma_f64 v[12:13], v[20:21], s[2:3], v[12:13]
	;; [unrolled: 1-line block ×3, first 2 shown]
	s_mov_b32 s2, 0x4755a5e
	s_mov_b32 s3, 0xbfe2cf23
	;; [unrolled: 1-line block ×3, first 2 shown]
	s_wait_alu 0xfffe
	s_mov_b32 s6, s2
	v_add_f64_e32 v[29:30], v[29:30], v[35:36]
	v_add_f64_e32 v[14:15], v[18:19], v[14:15]
	;; [unrolled: 1-line block ×3, first 2 shown]
	v_fma_f64 v[18:19], v[20:21], s[2:3], v[31:32]
	v_fma_f64 v[31:32], v[33:34], s[2:3], v[41:42]
	s_wait_alu 0xfffe
	v_fma_f64 v[12:13], v[33:34], s[6:7], v[12:13]
	v_fma_f64 v[20:21], v[20:21], s[6:7], v[27:28]
	s_mov_b32 s2, 0x372fe950
	s_mov_b32 s3, 0x3fd3c6ef
	v_and_b32_e32 v27, 0xffff, v54
	v_add_f64_e32 v[14:15], v[14:15], v[16:17]
	s_delay_alu instid0(VALU_DEP_2) | instskip(NEXT) | instid1(VALU_DEP_1)
	v_lshlrev_b32_e32 v27, 3, v27
	v_add3_u32 v27, 0, v53, v27
	s_wait_alu 0xfffe
	v_fma_f64 v[16:17], v[29:30], s[2:3], v[18:19]
	v_fma_f64 v[18:19], v[35:36], s[2:3], v[31:32]
	;; [unrolled: 1-line block ×4, first 2 shown]
	ds_store_2addr_b64 v27, v[14:15], v[16:17] offset1:6
	ds_store_2addr_b64 v27, v[18:19], v[12:13] offset0:12 offset1:18
	ds_store_b64 v27, v[20:21] offset:192
.LBB0_33:
	s_wait_alu 0xfffe
	s_or_b32 exec_lo, exec_lo, s1
	v_mul_lo_u16 v12, 0x89, v52
	global_wb scope:SCOPE_SE
	s_wait_dscnt 0x0
	s_barrier_signal -1
	s_barrier_wait -1
	global_inv scope:SCOPE_SE
	v_lshrrev_b16 v47, 12, v12
	s_mov_b32 s2, 0x37e14327
	s_mov_b32 s10, 0xe976ee23
	s_mov_b32 s3, 0x3fe948f6
	s_mov_b32 s11, 0xbfe11646
	v_mul_lo_u16 v12, v47, 30
	s_mov_b32 s0, 0x429ad128
	s_mov_b32 s12, 0x36b3c0b5
	;; [unrolled: 1-line block ×4, first 2 shown]
	v_sub_nc_u16 v12, v51, v12
	s_mov_b32 s6, 0xaaaaaaaa
	s_mov_b32 s18, 0xb247c609
	;; [unrolled: 1-line block ×4, first 2 shown]
	v_and_b32_e32 v73, 0xff, v12
	s_mov_b32 s19, 0x3fd5d0dc
	s_mov_b32 s15, 0x3fe77f67
	;; [unrolled: 1-line block ×4, first 2 shown]
	v_mul_u32_u24_e32 v12, 6, v73
	s_wait_alu 0xfffe
	s_mov_b32 s16, s14
	s_mov_b32 s20, s18
	;; [unrolled: 1-line block ×4, first 2 shown]
	v_lshlrev_b32_e32 v20, 4, v12
	s_clause 0x5
	global_load_b128 v[12:15], v20, s[4:5] offset:448
	global_load_b128 v[16:19], v20, s[4:5] offset:464
	;; [unrolled: 1-line block ×6, first 2 shown]
	ds_load_2addr_b64 v[43:46], v58 offset1:210
	ds_load_2addr_b64 v[52:55], v26 offset0:36 offset1:246
	ds_load_b64 v[20:21], v58 offset:10080
	ds_load_2addr_b64 v[59:62], v25 offset0:8 offset1:218
	global_wb scope:SCOPE_SE
	s_wait_loadcnt_dscnt 0x0
	s_barrier_signal -1
	s_barrier_wait -1
	global_inv scope:SCOPE_SE
	v_mul_f64_e32 v[56:57], v[45:46], v[14:15]
	v_mul_f64_e32 v[63:64], v[52:53], v[18:19]
	;; [unrolled: 1-line block ×12, first 2 shown]
	v_fma_f64 v[2:3], v[2:3], v[12:13], -v[56:57]
	v_fma_f64 v[8:9], v[8:9], v[16:17], -v[63:64]
	;; [unrolled: 1-line block ×4, first 2 shown]
	v_fma_f64 v[12:13], v[45:46], v[12:13], v[14:15]
	v_fma_f64 v[14:15], v[52:53], v[16:17], v[18:19]
	;; [unrolled: 1-line block ×4, first 2 shown]
	v_fma_f64 v[10:11], v[10:11], v[35:36], -v[69:70]
	v_fma_f64 v[20:21], v[54:55], v[35:36], v[37:38]
	v_fma_f64 v[4:5], v[4:5], v[39:40], -v[71:72]
	v_fma_f64 v[27:28], v[59:60], v[39:40], v[41:42]
	v_add_f64_e32 v[29:30], v[2:3], v[22:23]
	v_add_f64_e32 v[31:32], v[8:9], v[6:7]
	v_add_f64_e64 v[6:7], v[8:9], -v[6:7]
	v_add_f64_e64 v[2:3], v[2:3], -v[22:23]
	v_add_f64_e32 v[33:34], v[12:13], v[16:17]
	v_add_f64_e32 v[35:36], v[14:15], v[18:19]
	v_add_f64_e64 v[14:15], v[14:15], -v[18:19]
	v_add_f64_e64 v[12:13], v[12:13], -v[16:17]
	v_add_f64_e32 v[18:19], v[10:11], v[4:5]
	v_add_f64_e64 v[37:38], v[27:28], -v[20:21]
	v_add_f64_e32 v[8:9], v[20:21], v[27:28]
	;; [unrolled: 2-line block ×4, first 2 shown]
	v_add_f64_e64 v[27:28], v[14:15], -v[12:13]
	v_add_f64_e64 v[20:21], v[29:30], -v[18:19]
	;; [unrolled: 1-line block ×5, first 2 shown]
	v_add_f64_e32 v[14:15], v[37:38], v[14:15]
	v_add_f64_e64 v[37:38], v[12:13], -v[37:38]
	v_add_f64_e64 v[29:30], v[31:32], -v[29:30]
	v_add_f64_e32 v[6:7], v[4:5], v[6:7]
	v_add_f64_e64 v[4:5], v[2:3], -v[4:5]
	v_add_f64_e64 v[33:34], v[35:36], -v[33:34]
	v_add_f64_e32 v[16:17], v[18:19], v[16:17]
	v_add_f64_e64 v[18:19], v[18:19], -v[31:32]
	v_add_f64_e32 v[10:11], v[8:9], v[10:11]
	v_add_f64_e64 v[8:9], v[8:9], -v[35:36]
	v_mul_f64_e32 v[52:53], s[0:1], v[27:28]
	v_mul_f64_e32 v[20:21], s[2:3], v[20:21]
	;; [unrolled: 1-line block ×6, first 2 shown]
	v_add_f64_e32 v[12:13], v[14:15], v[12:13]
	v_add_f64_e32 v[2:3], v[6:7], v[2:3]
	;; [unrolled: 1-line block ×3, first 2 shown]
	v_mul_f64_e32 v[31:32], s[12:13], v[18:19]
	v_add_f64_e32 v[43:44], v[43:44], v[10:11]
	v_mul_f64_e32 v[54:55], s[12:13], v[8:9]
	v_fma_f64 v[14:15], v[18:19], s[12:13], v[20:21]
	v_fma_f64 v[18:19], v[37:38], s[18:19], v[22:23]
	v_fma_f64 v[22:23], v[27:28], s[0:1], -v[22:23]
	s_wait_alu 0xfffe
	v_fma_f64 v[27:28], v[37:38], s[20:21], -v[52:53]
	v_fma_f64 v[20:21], v[29:30], s[16:17], -v[20:21]
	v_fma_f64 v[6:7], v[8:9], s[12:13], v[39:40]
	v_fma_f64 v[8:9], v[4:5], s[18:19], v[41:42]
	v_fma_f64 v[4:5], v[4:5], s[20:21], -v[35:36]
	v_fma_f64 v[35:36], v[33:34], s[16:17], -v[39:40]
	v_and_b32_e32 v39, 0xffff, v47
	v_fma_f64 v[16:17], v[16:17], s[6:7], v[0:1]
	v_fma_f64 v[29:30], v[29:30], s[14:15], -v[31:32]
	v_fma_f64 v[31:32], v[45:46], s[0:1], -v[41:42]
	v_fma_f64 v[10:11], v[10:11], s[6:7], v[43:44]
	v_fma_f64 v[33:34], v[33:34], s[14:15], -v[54:55]
	v_fma_f64 v[18:19], v[12:13], s[22:23], v[18:19]
	v_fma_f64 v[22:23], v[12:13], s[22:23], v[22:23]
	;; [unrolled: 1-line block ×4, first 2 shown]
	v_add_f64_e32 v[14:15], v[14:15], v[16:17]
	v_add_f64_e32 v[20:21], v[20:21], v[16:17]
	;; [unrolled: 1-line block ×3, first 2 shown]
	v_fma_f64 v[27:28], v[2:3], s[22:23], v[31:32]
	v_fma_f64 v[2:3], v[2:3], s[22:23], v[4:5]
	v_add_f64_e32 v[4:5], v[6:7], v[10:11]
	v_add_f64_e32 v[6:7], v[35:36], v[10:11]
	v_add_f64_e32 v[10:11], v[33:34], v[10:11]
	v_add_f64_e32 v[29:30], v[18:19], v[14:15]
	v_add_f64_e32 v[31:32], v[12:13], v[20:21]
	v_add_f64_e64 v[33:34], v[16:17], -v[22:23]
	v_add_f64_e32 v[16:17], v[22:23], v[16:17]
	v_add_f64_e64 v[12:13], v[20:21], -v[12:13]
	v_add_f64_e64 v[14:15], v[14:15], -v[18:19]
	;; [unrolled: 1-line block ×4, first 2 shown]
	v_add_f64_e32 v[22:23], v[27:28], v[10:11]
	v_add_f64_e64 v[27:28], v[10:11], -v[27:28]
	v_add_f64_e32 v[35:36], v[2:3], v[6:7]
	v_add_f64_e32 v[37:38], v[8:9], v[4:5]
	v_mul_u32_u24_e32 v2, 0x690, v39
	v_lshlrev_b32_e32 v3, 3, v73
	s_delay_alu instid0(VALU_DEP_1)
	v_add3_u32 v39, 0, v2, v3
	ds_store_2addr_b64 v39, v[0:1], v[29:30] offset1:30
	ds_store_2addr_b64 v39, v[31:32], v[33:34] offset0:60 offset1:90
	ds_store_2addr_b64 v39, v[16:17], v[12:13] offset0:120 offset1:150
	ds_store_b64 v39, v[14:15] offset:1440
	global_wb scope:SCOPE_SE
	s_wait_dscnt 0x0
	s_barrier_signal -1
	s_barrier_wait -1
	global_inv scope:SCOPE_SE
	ds_load_2addr_b64 v[0:3], v58 offset1:210
	ds_load_2addr_b64 v[4:7], v26 offset0:36 offset1:246
	ds_load_2addr_b64 v[8:11], v25 offset0:8 offset1:218
	ds_load_b64 v[12:13], v58 offset:10080
	global_wb scope:SCOPE_SE
	s_wait_dscnt 0x0
	s_barrier_signal -1
	s_barrier_wait -1
	global_inv scope:SCOPE_SE
	ds_store_2addr_b64 v39, v[43:44], v[18:19] offset1:30
	ds_store_2addr_b64 v39, v[20:21], v[22:23] offset0:60 offset1:90
	ds_store_2addr_b64 v39, v[27:28], v[35:36] offset0:120 offset1:150
	ds_store_b64 v39, v[37:38] offset:1440
	global_wb scope:SCOPE_SE
	s_wait_dscnt 0x0
	s_barrier_signal -1
	s_barrier_wait -1
	global_inv scope:SCOPE_SE
	s_and_saveexec_b32 s24, vcc_lo
	s_cbranch_execz .LBB0_35
; %bb.34:
	v_mul_u32_u24_e32 v14, 6, v51
	v_add_nc_u32_e32 v23, 0x1a00, v58
	s_delay_alu instid0(VALU_DEP_2)
	v_lshlrev_b32_e32 v22, 4, v14
	s_clause 0x5
	global_load_b128 v[14:17], v22, s[4:5] offset:3344
	global_load_b128 v[18:21], v22, s[4:5] offset:3392
	;; [unrolled: 1-line block ×6, first 2 shown]
	v_add_nc_u32_e32 v22, 0xc00, v24
	ds_load_2addr_b64 v[41:44], v22 offset0:36 offset1:246
	ds_load_2addr_b64 v[51:54], v23 offset0:8 offset1:218
	ds_load_2addr_b64 v[59:62], v58 offset1:210
	ds_load_b64 v[22:23], v58 offset:10080
	s_wait_loadcnt 0x5
	v_mul_f64_e32 v[45:46], v[4:5], v[16:17]
	s_wait_loadcnt 0x4
	v_mul_f64_e32 v[55:56], v[10:11], v[20:21]
	s_wait_loadcnt 0x3
	v_mul_f64_e32 v[57:58], v[2:3], v[27:28]
	s_wait_loadcnt 0x2
	v_mul_f64_e32 v[63:64], v[12:13], v[31:32]
	s_wait_dscnt 0x3
	v_mul_f64_e32 v[16:17], v[41:42], v[16:17]
	s_wait_dscnt 0x2
	v_mul_f64_e32 v[20:21], v[53:54], v[20:21]
	;; [unrolled: 2-line block ×4, first 2 shown]
	s_wait_loadcnt 0x1
	v_mul_f64_e32 v[65:66], v[51:52], v[35:36]
	s_wait_loadcnt 0x0
	v_mul_f64_e32 v[67:68], v[43:44], v[39:40]
	v_mul_f64_e32 v[39:40], v[6:7], v[39:40]
	;; [unrolled: 1-line block ×3, first 2 shown]
	v_fma_f64 v[41:42], v[14:15], v[41:42], v[45:46]
	v_fma_f64 v[45:46], v[18:19], v[53:54], v[55:56]
	;; [unrolled: 1-line block ×4, first 2 shown]
	v_fma_f64 v[4:5], v[4:5], v[14:15], -v[16:17]
	v_fma_f64 v[10:11], v[10:11], v[18:19], -v[20:21]
	;; [unrolled: 1-line block ×6, first 2 shown]
	v_fma_f64 v[14:15], v[37:38], v[43:44], v[39:40]
	v_fma_f64 v[16:17], v[33:34], v[51:52], v[35:36]
	v_mov_b32_e32 v51, 0
	v_add_f64_e32 v[18:19], v[41:42], v[45:46]
	v_add_f64_e32 v[20:21], v[53:54], v[22:23]
	;; [unrolled: 1-line block ×3, first 2 shown]
	v_add_f64_e64 v[4:5], v[4:5], -v[10:11]
	v_add_f64_e32 v[26:27], v[2:3], v[12:13]
	v_add_f64_e64 v[28:29], v[8:9], -v[6:7]
	v_add_f64_e32 v[6:7], v[8:9], v[6:7]
	v_add_f64_e32 v[10:11], v[16:17], v[14:15]
	v_add_f64_e64 v[8:9], v[2:3], -v[12:13]
	v_add_f64_e64 v[12:13], v[16:17], -v[14:15]
	v_add_f64_e64 v[14:15], v[41:42], -v[45:46]
	v_add_f64_e64 v[16:17], v[53:54], -v[22:23]
	v_add_f64_e32 v[2:3], v[18:19], v[20:21]
	v_add_f64_e32 v[22:23], v[24:25], v[26:27]
	v_add_f64_e64 v[30:31], v[28:29], -v[4:5]
	v_add_f64_e64 v[34:35], v[26:27], -v[6:7]
	;; [unrolled: 1-line block ×4, first 2 shown]
	v_add_f64_e32 v[4:5], v[28:29], v[4:5]
	v_add_f64_e64 v[40:41], v[12:13], -v[14:15]
	v_add_f64_e64 v[42:43], v[14:15], -v[16:17]
	;; [unrolled: 1-line block ×3, first 2 shown]
	v_add_f64_e32 v[14:15], v[12:13], v[14:15]
	v_add_f64_e64 v[12:13], v[16:17], -v[12:13]
	v_add_f64_e32 v[38:39], v[10:11], v[2:3]
	v_add_f64_e64 v[10:11], v[10:11], -v[18:19]
	v_add_f64_e64 v[18:19], v[18:19], -v[20:21]
	v_add_f64_e32 v[22:23], v[6:7], v[22:23]
	v_add_f64_e64 v[6:7], v[6:7], -v[24:25]
	v_mul_f64_e32 v[30:31], s[10:11], v[30:31]
	v_mul_f64_e32 v[34:35], s[2:3], v[34:35]
	;; [unrolled: 1-line block ×4, first 2 shown]
	v_add_f64_e64 v[24:25], v[24:25], -v[26:27]
	v_mul_f64_e32 v[40:41], s[10:11], v[40:41]
	v_mul_f64_e32 v[46:47], s[0:1], v[42:43]
	v_add_f64_e32 v[4:5], v[4:5], v[8:9]
	v_add_f64_e32 v[8:9], v[14:15], v[16:17]
	;; [unrolled: 1-line block ×3, first 2 shown]
	v_mul_f64_e32 v[20:21], s[12:13], v[10:11]
	v_add_f64_e32 v[0:1], v[0:1], v[22:23]
	v_mul_f64_e32 v[26:27], s[12:13], v[6:7]
	v_fma_f64 v[14:15], v[28:29], s[18:19], v[30:31]
	v_fma_f64 v[6:7], v[6:7], s[12:13], v[34:35]
	;; [unrolled: 1-line block ×3, first 2 shown]
	v_fma_f64 v[16:17], v[28:29], s[20:21], -v[44:45]
	v_fma_f64 v[28:29], v[36:37], s[0:1], -v[30:31]
	;; [unrolled: 1-line block ×5, first 2 shown]
	v_fma_f64 v[30:31], v[38:39], s[6:7], v[2:3]
	v_fma_f64 v[18:19], v[18:19], s[14:15], -v[20:21]
	v_fma_f64 v[20:21], v[12:13], s[18:19], v[40:41]
	v_fma_f64 v[12:13], v[12:13], s[20:21], -v[46:47]
	;; [unrolled: 2-line block ×3, first 2 shown]
	v_fma_f64 v[26:27], v[4:5], s[22:23], v[14:15]
	v_fma_f64 v[16:17], v[4:5], s[22:23], v[16:17]
	;; [unrolled: 1-line block ×3, first 2 shown]
	v_add_f64_e32 v[28:29], v[10:11], v[30:31]
	v_add_f64_e32 v[32:33], v[32:33], v[30:31]
	;; [unrolled: 1-line block ×3, first 2 shown]
	v_fma_f64 v[30:31], v[8:9], s[22:23], v[20:21]
	v_fma_f64 v[38:39], v[8:9], s[22:23], v[12:13]
	;; [unrolled: 1-line block ×3, first 2 shown]
	v_add_f64_e32 v[36:37], v[6:7], v[22:23]
	v_add_f64_e32 v[34:35], v[34:35], v[22:23]
	v_add_f64_e32 v[12:13], v[24:25], v[22:23]
	v_add_f64_e32 v[6:7], v[26:27], v[28:29]
	v_add_f64_e64 v[26:27], v[28:29], -v[26:27]
	v_add_f64_e64 v[22:23], v[32:33], -v[16:17]
	v_add_f64_e32 v[10:11], v[16:17], v[32:33]
	v_add_f64_e64 v[14:15], v[18:19], -v[4:5]
	v_add_f64_e32 v[18:19], v[4:5], v[18:19]
	v_add_f64_e32 v[24:25], v[30:31], v[36:37]
	;; [unrolled: 1-line block ×3, first 2 shown]
	v_add_f64_e64 v[16:17], v[12:13], -v[8:9]
	v_add_f64_e32 v[12:13], v[8:9], v[12:13]
	v_add_f64_e64 v[8:9], v[34:35], -v[38:39]
	v_add_f64_e64 v[4:5], v[36:37], -v[30:31]
	v_lshlrev_b64_e32 v[28:29], 4, v[50:51]
	v_add_co_u32 v30, vcc_lo, s8, v48
	s_wait_alu 0xfffd
	v_add_co_ci_u32_e32 v31, vcc_lo, s9, v49, vcc_lo
	s_delay_alu instid0(VALU_DEP_2) | instskip(SKIP_1) | instid1(VALU_DEP_2)
	v_add_co_u32 v28, vcc_lo, v30, v28
	s_wait_alu 0xfffd
	v_add_co_ci_u32_e32 v29, vcc_lo, v31, v29, vcc_lo
	s_clause 0x6
	global_store_b128 v[28:29], v[0:3], off
	global_store_b128 v[28:29], v[24:27], off offset:3360
	global_store_b128 v[28:29], v[20:23], off offset:6720
	;; [unrolled: 1-line block ×6, first 2 shown]
.LBB0_35:
	s_nop 0
	s_sendmsg sendmsg(MSG_DEALLOC_VGPRS)
	s_endpgm
	.section	.rodata,"a",@progbits
	.p2align	6, 0x0
	.amdhsa_kernel fft_rtc_fwd_len1470_factors_2_3_5_7_7_wgs_210_tpt_210_halfLds_dp_ip_CI_unitstride_sbrr_dirReg
		.amdhsa_group_segment_fixed_size 0
		.amdhsa_private_segment_fixed_size 0
		.amdhsa_kernarg_size 88
		.amdhsa_user_sgpr_count 2
		.amdhsa_user_sgpr_dispatch_ptr 0
		.amdhsa_user_sgpr_queue_ptr 0
		.amdhsa_user_sgpr_kernarg_segment_ptr 1
		.amdhsa_user_sgpr_dispatch_id 0
		.amdhsa_user_sgpr_private_segment_size 0
		.amdhsa_wavefront_size32 1
		.amdhsa_uses_dynamic_stack 0
		.amdhsa_enable_private_segment 0
		.amdhsa_system_sgpr_workgroup_id_x 1
		.amdhsa_system_sgpr_workgroup_id_y 0
		.amdhsa_system_sgpr_workgroup_id_z 0
		.amdhsa_system_sgpr_workgroup_info 0
		.amdhsa_system_vgpr_workitem_id 0
		.amdhsa_next_free_vgpr 98
		.amdhsa_next_free_sgpr 32
		.amdhsa_reserve_vcc 1
		.amdhsa_float_round_mode_32 0
		.amdhsa_float_round_mode_16_64 0
		.amdhsa_float_denorm_mode_32 3
		.amdhsa_float_denorm_mode_16_64 3
		.amdhsa_fp16_overflow 0
		.amdhsa_workgroup_processor_mode 1
		.amdhsa_memory_ordered 1
		.amdhsa_forward_progress 0
		.amdhsa_round_robin_scheduling 0
		.amdhsa_exception_fp_ieee_invalid_op 0
		.amdhsa_exception_fp_denorm_src 0
		.amdhsa_exception_fp_ieee_div_zero 0
		.amdhsa_exception_fp_ieee_overflow 0
		.amdhsa_exception_fp_ieee_underflow 0
		.amdhsa_exception_fp_ieee_inexact 0
		.amdhsa_exception_int_div_zero 0
	.end_amdhsa_kernel
	.text
.Lfunc_end0:
	.size	fft_rtc_fwd_len1470_factors_2_3_5_7_7_wgs_210_tpt_210_halfLds_dp_ip_CI_unitstride_sbrr_dirReg, .Lfunc_end0-fft_rtc_fwd_len1470_factors_2_3_5_7_7_wgs_210_tpt_210_halfLds_dp_ip_CI_unitstride_sbrr_dirReg
                                        ; -- End function
	.section	.AMDGPU.csdata,"",@progbits
; Kernel info:
; codeLenInByte = 7156
; NumSgprs: 34
; NumVgprs: 98
; ScratchSize: 0
; MemoryBound: 1
; FloatMode: 240
; IeeeMode: 1
; LDSByteSize: 0 bytes/workgroup (compile time only)
; SGPRBlocks: 4
; VGPRBlocks: 12
; NumSGPRsForWavesPerEU: 34
; NumVGPRsForWavesPerEU: 98
; Occupancy: 12
; WaveLimiterHint : 1
; COMPUTE_PGM_RSRC2:SCRATCH_EN: 0
; COMPUTE_PGM_RSRC2:USER_SGPR: 2
; COMPUTE_PGM_RSRC2:TRAP_HANDLER: 0
; COMPUTE_PGM_RSRC2:TGID_X_EN: 1
; COMPUTE_PGM_RSRC2:TGID_Y_EN: 0
; COMPUTE_PGM_RSRC2:TGID_Z_EN: 0
; COMPUTE_PGM_RSRC2:TIDIG_COMP_CNT: 0
	.text
	.p2alignl 7, 3214868480
	.fill 96, 4, 3214868480
	.type	__hip_cuid_f6ba90fc2fab04cf,@object ; @__hip_cuid_f6ba90fc2fab04cf
	.section	.bss,"aw",@nobits
	.globl	__hip_cuid_f6ba90fc2fab04cf
__hip_cuid_f6ba90fc2fab04cf:
	.byte	0                               ; 0x0
	.size	__hip_cuid_f6ba90fc2fab04cf, 1

	.ident	"AMD clang version 19.0.0git (https://github.com/RadeonOpenCompute/llvm-project roc-6.4.0 25133 c7fe45cf4b819c5991fe208aaa96edf142730f1d)"
	.section	".note.GNU-stack","",@progbits
	.addrsig
	.addrsig_sym __hip_cuid_f6ba90fc2fab04cf
	.amdgpu_metadata
---
amdhsa.kernels:
  - .args:
      - .actual_access:  read_only
        .address_space:  global
        .offset:         0
        .size:           8
        .value_kind:     global_buffer
      - .offset:         8
        .size:           8
        .value_kind:     by_value
      - .actual_access:  read_only
        .address_space:  global
        .offset:         16
        .size:           8
        .value_kind:     global_buffer
      - .actual_access:  read_only
        .address_space:  global
        .offset:         24
        .size:           8
        .value_kind:     global_buffer
      - .offset:         32
        .size:           8
        .value_kind:     by_value
      - .actual_access:  read_only
        .address_space:  global
        .offset:         40
        .size:           8
        .value_kind:     global_buffer
      - .actual_access:  read_only
        .address_space:  global
        .offset:         48
        .size:           8
        .value_kind:     global_buffer
      - .offset:         56
        .size:           4
        .value_kind:     by_value
      - .actual_access:  read_only
        .address_space:  global
        .offset:         64
        .size:           8
        .value_kind:     global_buffer
      - .actual_access:  read_only
        .address_space:  global
        .offset:         72
        .size:           8
        .value_kind:     global_buffer
      - .address_space:  global
        .offset:         80
        .size:           8
        .value_kind:     global_buffer
    .group_segment_fixed_size: 0
    .kernarg_segment_align: 8
    .kernarg_segment_size: 88
    .language:       OpenCL C
    .language_version:
      - 2
      - 0
    .max_flat_workgroup_size: 210
    .name:           fft_rtc_fwd_len1470_factors_2_3_5_7_7_wgs_210_tpt_210_halfLds_dp_ip_CI_unitstride_sbrr_dirReg
    .private_segment_fixed_size: 0
    .sgpr_count:     34
    .sgpr_spill_count: 0
    .symbol:         fft_rtc_fwd_len1470_factors_2_3_5_7_7_wgs_210_tpt_210_halfLds_dp_ip_CI_unitstride_sbrr_dirReg.kd
    .uniform_work_group_size: 1
    .uses_dynamic_stack: false
    .vgpr_count:     98
    .vgpr_spill_count: 0
    .wavefront_size: 32
    .workgroup_processor_mode: 1
amdhsa.target:   amdgcn-amd-amdhsa--gfx1201
amdhsa.version:
  - 1
  - 2
...

	.end_amdgpu_metadata
